;; amdgpu-corpus repo=ROCm/rocFFT kind=compiled arch=gfx1030 opt=O3
	.text
	.amdgcn_target "amdgcn-amd-amdhsa--gfx1030"
	.amdhsa_code_object_version 6
	.protected	fft_rtc_back_len286_factors_13_11_2_wgs_52_tpt_26_dp_ip_CI_sbrr_dirReg ; -- Begin function fft_rtc_back_len286_factors_13_11_2_wgs_52_tpt_26_dp_ip_CI_sbrr_dirReg
	.globl	fft_rtc_back_len286_factors_13_11_2_wgs_52_tpt_26_dp_ip_CI_sbrr_dirReg
	.p2align	8
	.type	fft_rtc_back_len286_factors_13_11_2_wgs_52_tpt_26_dp_ip_CI_sbrr_dirReg,@function
fft_rtc_back_len286_factors_13_11_2_wgs_52_tpt_26_dp_ip_CI_sbrr_dirReg: ; @fft_rtc_back_len286_factors_13_11_2_wgs_52_tpt_26_dp_ip_CI_sbrr_dirReg
; %bb.0:
	s_clause 0x2
	s_load_dwordx2 s[14:15], s[4:5], 0x18
	s_load_dwordx4 s[8:11], s[4:5], 0x0
	s_load_dwordx2 s[12:13], s[4:5], 0x50
	s_mov_b64 s[42:43], s[2:3]
	s_mov_b64 s[40:41], s[0:1]
	v_mul_u32_u24_e32 v1, 0x9d9, v0
	v_mov_b32_e32 v3, 0
	s_add_u32 s40, s40, s7
	s_addc_u32 s41, s41, 0
	v_lshrrev_b32_e32 v9, 16, v1
	v_mov_b32_e32 v1, 0
	v_mov_b32_e32 v6, v3
	;; [unrolled: 1-line block ×3, first 2 shown]
	v_lshl_add_u32 v5, s6, 1, v9
	s_waitcnt lgkmcnt(0)
	s_load_dwordx2 s[2:3], s[14:15], 0x0
	v_cmp_lt_u64_e64 s0, s[10:11], 2
	s_and_b32 vcc_lo, exec_lo, s0
	s_cbranch_vccnz .LBB0_8
; %bb.1:
	s_load_dwordx2 s[0:1], s[4:5], 0x10
	v_mov_b32_e32 v1, 0
	s_add_u32 s6, s14, 8
	v_mov_b32_e32 v2, 0
	s_addc_u32 s7, s15, 0
	s_mov_b64 s[18:19], 1
	s_waitcnt lgkmcnt(0)
	s_add_u32 s16, s0, 8
	s_addc_u32 s17, s1, 0
.LBB0_2:                                ; =>This Inner Loop Header: Depth=1
	s_load_dwordx2 s[20:21], s[16:17], 0x0
                                        ; implicit-def: $vgpr7_vgpr8
	s_mov_b32 s0, exec_lo
	s_waitcnt lgkmcnt(0)
	v_or_b32_e32 v4, s21, v6
	v_cmpx_ne_u64_e32 0, v[3:4]
	s_xor_b32 s1, exec_lo, s0
	s_cbranch_execz .LBB0_4
; %bb.3:                                ;   in Loop: Header=BB0_2 Depth=1
	v_cvt_f32_u32_e32 v4, s20
	v_cvt_f32_u32_e32 v7, s21
	s_sub_u32 s0, 0, s20
	s_subb_u32 s22, 0, s21
	v_fmac_f32_e32 v4, 0x4f800000, v7
	v_rcp_f32_e32 v4, v4
	v_mul_f32_e32 v4, 0x5f7ffffc, v4
	v_mul_f32_e32 v7, 0x2f800000, v4
	v_trunc_f32_e32 v7, v7
	v_fmac_f32_e32 v4, 0xcf800000, v7
	v_cvt_u32_f32_e32 v7, v7
	v_cvt_u32_f32_e32 v4, v4
	v_mul_lo_u32 v8, s0, v7
	v_mul_hi_u32 v10, s0, v4
	v_mul_lo_u32 v11, s22, v4
	v_add_nc_u32_e32 v8, v10, v8
	v_mul_lo_u32 v10, s0, v4
	v_add_nc_u32_e32 v8, v8, v11
	v_mul_hi_u32 v11, v4, v10
	v_mul_lo_u32 v12, v4, v8
	v_mul_hi_u32 v13, v4, v8
	v_mul_hi_u32 v14, v7, v10
	v_mul_lo_u32 v10, v7, v10
	v_mul_hi_u32 v15, v7, v8
	v_mul_lo_u32 v8, v7, v8
	v_add_co_u32 v11, vcc_lo, v11, v12
	v_add_co_ci_u32_e32 v12, vcc_lo, 0, v13, vcc_lo
	v_add_co_u32 v10, vcc_lo, v11, v10
	v_add_co_ci_u32_e32 v10, vcc_lo, v12, v14, vcc_lo
	v_add_co_ci_u32_e32 v11, vcc_lo, 0, v15, vcc_lo
	v_add_co_u32 v8, vcc_lo, v10, v8
	v_add_co_ci_u32_e32 v10, vcc_lo, 0, v11, vcc_lo
	v_add_co_u32 v4, vcc_lo, v4, v8
	v_add_co_ci_u32_e32 v7, vcc_lo, v7, v10, vcc_lo
	v_mul_hi_u32 v8, s0, v4
	v_mul_lo_u32 v11, s22, v4
	v_mul_lo_u32 v10, s0, v7
	v_add_nc_u32_e32 v8, v8, v10
	v_mul_lo_u32 v10, s0, v4
	v_add_nc_u32_e32 v8, v8, v11
	v_mul_hi_u32 v11, v4, v10
	v_mul_lo_u32 v12, v4, v8
	v_mul_hi_u32 v13, v4, v8
	v_mul_hi_u32 v14, v7, v10
	v_mul_lo_u32 v10, v7, v10
	v_mul_hi_u32 v15, v7, v8
	v_mul_lo_u32 v8, v7, v8
	v_add_co_u32 v11, vcc_lo, v11, v12
	v_add_co_ci_u32_e32 v12, vcc_lo, 0, v13, vcc_lo
	v_add_co_u32 v10, vcc_lo, v11, v10
	v_add_co_ci_u32_e32 v10, vcc_lo, v12, v14, vcc_lo
	v_add_co_ci_u32_e32 v11, vcc_lo, 0, v15, vcc_lo
	v_add_co_u32 v8, vcc_lo, v10, v8
	v_add_co_ci_u32_e32 v10, vcc_lo, 0, v11, vcc_lo
	v_add_co_u32 v4, vcc_lo, v4, v8
	v_add_co_ci_u32_e32 v12, vcc_lo, v7, v10, vcc_lo
	v_mul_hi_u32 v14, v5, v4
	v_mad_u64_u32 v[10:11], null, v6, v4, 0
	v_mad_u64_u32 v[7:8], null, v5, v12, 0
	v_mad_u64_u32 v[12:13], null, v6, v12, 0
	v_add_co_u32 v4, vcc_lo, v14, v7
	v_add_co_ci_u32_e32 v7, vcc_lo, 0, v8, vcc_lo
	v_add_co_u32 v4, vcc_lo, v4, v10
	v_add_co_ci_u32_e32 v4, vcc_lo, v7, v11, vcc_lo
	v_add_co_ci_u32_e32 v7, vcc_lo, 0, v13, vcc_lo
	v_add_co_u32 v4, vcc_lo, v4, v12
	v_add_co_ci_u32_e32 v10, vcc_lo, 0, v7, vcc_lo
	v_mul_lo_u32 v11, s21, v4
	v_mad_u64_u32 v[7:8], null, s20, v4, 0
	v_mul_lo_u32 v12, s20, v10
	v_sub_co_u32 v7, vcc_lo, v5, v7
	v_add3_u32 v8, v8, v12, v11
	v_sub_nc_u32_e32 v11, v6, v8
	v_subrev_co_ci_u32_e64 v11, s0, s21, v11, vcc_lo
	v_add_co_u32 v12, s0, v4, 2
	v_add_co_ci_u32_e64 v13, s0, 0, v10, s0
	v_sub_co_u32 v14, s0, v7, s20
	v_sub_co_ci_u32_e32 v8, vcc_lo, v6, v8, vcc_lo
	v_subrev_co_ci_u32_e64 v11, s0, 0, v11, s0
	v_cmp_le_u32_e32 vcc_lo, s20, v14
	v_cmp_eq_u32_e64 s0, s21, v8
	v_cndmask_b32_e64 v14, 0, -1, vcc_lo
	v_cmp_le_u32_e32 vcc_lo, s21, v11
	v_cndmask_b32_e64 v15, 0, -1, vcc_lo
	v_cmp_le_u32_e32 vcc_lo, s20, v7
	;; [unrolled: 2-line block ×3, first 2 shown]
	v_cndmask_b32_e64 v16, 0, -1, vcc_lo
	v_cmp_eq_u32_e32 vcc_lo, s21, v11
	v_cndmask_b32_e64 v7, v16, v7, s0
	v_cndmask_b32_e32 v11, v15, v14, vcc_lo
	v_add_co_u32 v14, vcc_lo, v4, 1
	v_add_co_ci_u32_e32 v15, vcc_lo, 0, v10, vcc_lo
	v_cmp_ne_u32_e32 vcc_lo, 0, v11
	v_cndmask_b32_e32 v8, v15, v13, vcc_lo
	v_cndmask_b32_e32 v11, v14, v12, vcc_lo
	v_cmp_ne_u32_e32 vcc_lo, 0, v7
	v_cndmask_b32_e32 v8, v10, v8, vcc_lo
	v_cndmask_b32_e32 v7, v4, v11, vcc_lo
.LBB0_4:                                ;   in Loop: Header=BB0_2 Depth=1
	s_andn2_saveexec_b32 s0, s1
	s_cbranch_execz .LBB0_6
; %bb.5:                                ;   in Loop: Header=BB0_2 Depth=1
	v_cvt_f32_u32_e32 v4, s20
	s_sub_i32 s1, 0, s20
	v_rcp_iflag_f32_e32 v4, v4
	v_mul_f32_e32 v4, 0x4f7ffffe, v4
	v_cvt_u32_f32_e32 v4, v4
	v_mul_lo_u32 v7, s1, v4
	v_mul_hi_u32 v7, v4, v7
	v_add_nc_u32_e32 v4, v4, v7
	v_mul_hi_u32 v4, v5, v4
	v_mul_lo_u32 v7, v4, s20
	v_add_nc_u32_e32 v8, 1, v4
	v_sub_nc_u32_e32 v7, v5, v7
	v_subrev_nc_u32_e32 v10, s20, v7
	v_cmp_le_u32_e32 vcc_lo, s20, v7
	v_cndmask_b32_e32 v7, v7, v10, vcc_lo
	v_cndmask_b32_e32 v4, v4, v8, vcc_lo
	v_cmp_le_u32_e32 vcc_lo, s20, v7
	v_add_nc_u32_e32 v8, 1, v4
	v_cndmask_b32_e32 v7, v4, v8, vcc_lo
	v_mov_b32_e32 v8, v3
.LBB0_6:                                ;   in Loop: Header=BB0_2 Depth=1
	s_or_b32 exec_lo, exec_lo, s0
	s_load_dwordx2 s[0:1], s[6:7], 0x0
	v_mul_lo_u32 v4, v8, s20
	v_mul_lo_u32 v12, v7, s21
	v_mad_u64_u32 v[10:11], null, v7, s20, 0
	s_add_u32 s18, s18, 1
	s_addc_u32 s19, s19, 0
	s_add_u32 s6, s6, 8
	s_addc_u32 s7, s7, 0
	s_add_u32 s16, s16, 8
	s_addc_u32 s17, s17, 0
	v_add3_u32 v4, v11, v12, v4
	v_sub_co_u32 v5, vcc_lo, v5, v10
	v_sub_co_ci_u32_e32 v4, vcc_lo, v6, v4, vcc_lo
	s_waitcnt lgkmcnt(0)
	v_mul_lo_u32 v6, s1, v5
	v_mul_lo_u32 v4, s0, v4
	v_mad_u64_u32 v[1:2], null, s0, v5, v[1:2]
	v_cmp_ge_u64_e64 s0, s[18:19], s[10:11]
	s_and_b32 vcc_lo, exec_lo, s0
	v_add3_u32 v2, v6, v2, v4
	s_cbranch_vccnz .LBB0_9
; %bb.7:                                ;   in Loop: Header=BB0_2 Depth=1
	v_mov_b32_e32 v5, v7
	v_mov_b32_e32 v6, v8
	s_branch .LBB0_2
.LBB0_8:
	v_mov_b32_e32 v8, v6
	v_mov_b32_e32 v7, v5
.LBB0_9:
	s_lshl_b64 s[0:1], s[10:11], 3
	v_mul_hi_u32 v3, 0x9d89d8a, v0
	s_add_u32 s0, s14, s0
	s_addc_u32 s1, s15, s1
	v_and_b32_e32 v4, 1, v9
	s_load_dwordx2 s[0:1], s[0:1], 0x0
	s_load_dwordx2 s[4:5], s[4:5], 0x20
	v_cmp_eq_u32_e32 vcc_lo, 1, v4
	v_mul_u32_u24_e32 v3, 26, v3
	v_cndmask_b32_e64 v192, 0, 0x11e, vcc_lo
	v_sub_nc_u32_e32 v56, v0, v3
	v_lshlrev_b32_e32 v196, 4, v192
	v_add_nc_u32_e32 v5, 26, v56
	v_lshlrev_b32_e32 v0, 4, v56
	v_add_nc_u32_e32 v255, 52, v56
	buffer_store_dword v5, off, s[40:43], 0 offset:40 ; 4-byte Folded Spill
	s_waitcnt lgkmcnt(0)
	v_mul_lo_u32 v3, s0, v8
	v_mul_lo_u32 v4, s1, v7
	v_mad_u64_u32 v[1:2], null, s0, v7, v[1:2]
	v_add_nc_u32_e32 v5, 0x4e, v56
	v_cmp_gt_u64_e32 vcc_lo, s[4:5], v[7:8]
	buffer_store_dword v5, off, s[40:43], 0 offset:36 ; 4-byte Folded Spill
	v_add3_u32 v2, v4, v2, v3
	v_add_nc_u32_e32 v3, 0x9c, v56
	v_add_nc_u32_e32 v5, 0x68, v56
	v_lshlrev_b64 v[1:2], 4, v[1:2]
	buffer_store_dword v3, off, s[40:43], 0 offset:28 ; 4-byte Folded Spill
	v_add_nc_u32_e32 v3, 0xb6, v56
	buffer_store_dword v5, off, s[40:43], 0 offset:32 ; 4-byte Folded Spill
	v_add_nc_u32_e32 v5, 0x82, v56
	;; [unrolled: 2-line block ×3, first 2 shown]
	buffer_store_dword v5, off, s[40:43], 0 ; 4-byte Folded Spill
	buffer_store_dword v3, off, s[40:43], 0 offset:20 ; 4-byte Folded Spill
	buffer_store_dword v1, off, s[40:43], 0 offset:4 ; 4-byte Folded Spill
	;; [unrolled: 1-line block ×3, first 2 shown]
	v_add_nc_u32_e32 v1, 0xea, v56
	buffer_store_dword v1, off, s[40:43], 0 offset:16 ; 4-byte Folded Spill
	v_add_nc_u32_e32 v1, 0x104, v56
	buffer_store_dword v1, off, s[40:43], 0 offset:12 ; 4-byte Folded Spill
	s_and_saveexec_b32 s1, vcc_lo
	s_cbranch_execz .LBB0_11
; %bb.10:
	v_add_nc_u32_e32 v7, 26, v56
	v_mad_u64_u32 v[1:2], null, s2, v56, 0
	v_add_nc_u32_e32 v8, 0x68, v56
	v_add_nc_u32_e32 v17, 0x4e, v56
	v_mad_u64_u32 v[3:4], null, s2, v7, 0
	v_mad_u64_u32 v[9:10], null, s2, v255, 0
	;; [unrolled: 1-line block ×5, first 2 shown]
	v_mov_b32_e32 v2, v4
	v_add_nc_u32_e32 v20, 0x9c, v56
	v_add_nc_u32_e32 v32, 0xd0, v56
	;; [unrolled: 1-line block ×4, first 2 shown]
	v_mad_u64_u32 v[6:7], null, s3, v7, v[2:3]
	v_mov_b32_e32 v2, v5
	s_clause 0x1
	buffer_load_dword v4, off, s[40:43], 0 offset:4
	buffer_load_dword v5, off, s[40:43], 0 offset:8
	v_mov_b32_e32 v7, v12
	v_mad_u64_u32 v[23:24], null, s2, v20, 0
	v_lshlrev_b64 v[1:2], 4, v[1:2]
	v_mad_u64_u32 v[25:26], null, s2, v30, 0
	v_mad_u64_u32 v[17:18], null, s3, v17, v[7:8]
	v_add3_u32 v45, 0, v196, v0
	v_mov_b32_e32 v12, v17
	v_lshlrev_b64 v[11:12], 4, v[11:12]
	s_waitcnt vmcnt(1)
	v_add_co_u32 v39, s0, s12, v4
	s_waitcnt vmcnt(0)
	v_add_co_ci_u32_e64 v40, s0, s13, v5, s0
	v_mov_b32_e32 v5, v10
	v_mov_b32_e32 v4, v6
	;; [unrolled: 1-line block ×3, first 2 shown]
	v_add_co_u32 v1, s0, v39, v1
	v_add_co_ci_u32_e64 v2, s0, v40, v2, s0
	v_mad_u64_u32 v[14:15], null, s3, v255, v[5:6]
	v_mad_u64_u32 v[18:19], null, s3, v8, v[6:7]
	v_add_nc_u32_e32 v19, 0x82, v56
	v_lshlrev_b64 v[3:4], 4, v[3:4]
	v_mov_b32_e32 v10, v14
	v_mad_u64_u32 v[21:22], null, s2, v19, 0
	v_add_co_u32 v15, s0, v39, v3
	v_lshlrev_b64 v[9:10], 4, v[9:10]
	v_add_co_ci_u32_e64 v16, s0, v40, v4, s0
	s_clause 0x1
	global_load_dwordx4 v[1:4], v[1:2], off
	global_load_dwordx4 v[5:8], v[15:16], off
	v_add_co_u32 v9, s0, v39, v9
	v_add_co_ci_u32_e64 v10, s0, v40, v10, s0
	v_mov_b32_e32 v14, v18
	v_mov_b32_e32 v15, v22
	v_add_co_u32 v16, s0, v39, v11
	v_add_co_ci_u32_e64 v17, s0, v40, v12, s0
	v_lshlrev_b64 v[13:14], 4, v[13:14]
	v_mad_u64_u32 v[11:12], null, s3, v19, v[15:16]
	v_mov_b32_e32 v12, v24
	v_add_co_u32 v18, s0, v39, v13
	v_mad_u64_u32 v[27:28], null, s3, v20, v[12:13]
	v_mad_u64_u32 v[28:29], null, s2, v32, 0
	v_mov_b32_e32 v22, v11
	v_add_co_ci_u32_e64 v19, s0, v40, v14, s0
	s_clause 0x2
	global_load_dwordx4 v[9:12], v[9:10], off
	global_load_dwordx4 v[13:16], v[16:17], off
	;; [unrolled: 1-line block ×3, first 2 shown]
	v_mov_b32_e32 v24, v27
	v_mov_b32_e32 v27, v29
	v_lshlrev_b64 v[21:22], 4, v[21:22]
	v_mad_u64_u32 v[29:30], null, s3, v30, v[26:27]
	v_mad_u64_u32 v[30:31], null, s2, v35, 0
	;; [unrolled: 1-line block ×3, first 2 shown]
	v_add_nc_u32_e32 v27, 0x104, v56
	v_add_co_u32 v37, s0, v39, v21
	v_add_co_ci_u32_e64 v38, s0, v40, v22, s0
	v_mad_u64_u32 v[33:34], null, s2, v27, 0
	v_lshlrev_b64 v[22:23], 4, v[23:24]
	v_mov_b32_e32 v21, v31
	v_mov_b32_e32 v26, v29
	;; [unrolled: 1-line block ×3, first 2 shown]
	v_mad_u64_u32 v[31:32], null, s3, v35, v[21:22]
	v_mov_b32_e32 v21, v34
	v_add_co_u32 v22, s0, v39, v22
	v_lshlrev_b64 v[24:25], 4, v[25:26]
	v_add_co_ci_u32_e64 v23, s0, v40, v23, s0
	v_mad_u64_u32 v[26:27], null, s3, v27, v[21:22]
	v_lshlrev_b64 v[27:28], 4, v[28:29]
	v_add_co_u32 v35, s0, v39, v24
	v_add_co_ci_u32_e64 v36, s0, v40, v25, s0
	v_lshlrev_b64 v[24:25], 4, v[30:31]
	v_mov_b32_e32 v34, v26
	v_add_co_u32 v29, s0, v39, v27
	v_add_co_ci_u32_e64 v30, s0, v40, v28, s0
	v_lshlrev_b64 v[26:27], 4, v[33:34]
	v_add_co_u32 v33, s0, v39, v24
	v_add_co_ci_u32_e64 v34, s0, v40, v25, s0
	v_add_co_u32 v41, s0, v39, v26
	v_add_co_ci_u32_e64 v42, s0, v40, v27, s0
	s_clause 0x5
	global_load_dwordx4 v[21:24], v[22:23], off
	global_load_dwordx4 v[25:28], v[35:36], off
	global_load_dwordx4 v[29:32], v[29:30], off
	global_load_dwordx4 v[33:36], v[33:34], off
	global_load_dwordx4 v[37:40], v[37:38], off
	global_load_dwordx4 v[41:44], v[41:42], off
	s_waitcnt vmcnt(10)
	ds_write_b128 v45, v[1:4]
	s_waitcnt vmcnt(9)
	ds_write_b128 v45, v[5:8] offset:416
	s_waitcnt vmcnt(8)
	ds_write_b128 v45, v[9:12] offset:832
	;; [unrolled: 2-line block ×10, first 2 shown]
.LBB0_11:
	s_or_b32 exec_lo, exec_lo, s1
	v_add_nc_u32_e32 v195, 0, v0
	s_waitcnt lgkmcnt(0)
	s_waitcnt_vscnt null, 0x0
	s_barrier
	buffer_gl0_inv
	v_add3_u32 v193, 0, v196, v0
	v_add_nc_u32_e32 v194, v195, v196
	s_mov_b32 s6, 0x42a4c3d2
	s_mov_b32 s4, 0x1ea71119
	;; [unrolled: 1-line block ×4, first 2 shown]
	ds_read_b128 v[4:7], v194 offset:4224
	ds_read_b128 v[52:55], v194 offset:352
	;; [unrolled: 1-line block ×3, first 2 shown]
	ds_read_b128 v[16:19], v193
	ds_read_b128 v[40:43], v194 offset:704
	ds_read_b128 v[28:31], v194 offset:1056
	;; [unrolled: 1-line block ×3, first 2 shown]
	s_mov_b32 s18, 0x2ef20147
	s_mov_b32 s14, 0xb2365da1
	s_mov_b32 s19, 0xbfedeba7
	s_mov_b32 s15, 0xbfd6b1d8
	ds_read_b128 v[20:23], v194 offset:3168
	ds_read_b128 v[44:47], v194 offset:1408
	s_mov_b32 s10, 0x93053d00
	s_mov_b32 s16, 0x4bc48dbf
	s_mov_b32 s11, 0xbfef11f4
	s_mov_b32 s17, 0xbfcea1e5
	ds_read_b128 v[36:39], v194 offset:1760
	ds_read_b128 v[24:27], v194 offset:2816
	;; [unrolled: 6-line block ×3, first 2 shown]
	s_mov_b32 s22, 0xebaa3ed8
	s_waitcnt lgkmcnt(11)
	v_add_f64 v[66:67], v[54:55], -v[6:7]
	v_add_f64 v[60:61], v[54:55], v[6:7]
	v_add_f64 v[74:75], v[52:53], v[4:5]
	s_waitcnt lgkmcnt(8)
	v_add_f64 v[70:71], v[42:43], -v[10:11]
	v_add_f64 v[96:97], v[52:53], -v[4:5]
	v_add_f64 v[62:63], v[42:43], v[10:11]
	v_add_f64 v[68:69], v[40:41], v[8:9]
	v_add_f64 v[98:99], v[40:41], -v[8:9]
	s_waitcnt lgkmcnt(6)
	v_add_f64 v[78:79], v[30:31], -v[14:15]
	v_add_f64 v[64:65], v[30:31], v[14:15]
	v_add_f64 v[84:85], v[28:29], v[12:13]
	v_add_f64 v[114:115], v[28:29], -v[12:13]
	s_waitcnt lgkmcnt(4)
	v_add_f64 v[92:93], v[46:47], -v[22:23]
	v_add_f64 v[72:73], v[46:47], v[22:23]
	v_add_f64 v[94:95], v[44:45], v[20:21]
	v_add_f64 v[126:127], v[44:45], -v[20:21]
	s_waitcnt lgkmcnt(2)
	v_add_f64 v[110:111], v[38:39], -v[26:27]
	v_add_f64 v[82:83], v[38:39], v[26:27]
	s_mov_b32 s23, 0x3fbedb7d
	s_mov_b32 s29, 0x3fefc445
	;; [unrolled: 1-line block ×3, first 2 shown]
	v_add_f64 v[90:91], v[36:37], v[24:25]
	v_mul_f64 v[76:77], v[66:67], s[6:7]
	v_mul_f64 v[106:107], v[60:61], s[4:5]
	v_add_f64 v[124:125], v[36:37], -v[24:25]
	v_mul_f64 v[88:89], v[70:71], s[18:19]
	s_waitcnt lgkmcnt(0)
	v_add_f64 v[104:105], v[50:51], -v[34:35]
	v_mul_f64 v[116:117], v[62:63], s[14:15]
	s_mov_b32 s24, 0xe00740e9
	s_mov_b32 s25, 0x3fec55a7
	v_mul_f64 v[102:103], v[78:79], s[16:17]
	v_mul_f64 v[128:129], v[64:65], s[10:11]
	s_mov_b32 s31, 0x3fddbe06
	s_mov_b32 s30, 0x4267c47c
	v_mul_f64 v[118:119], v[92:93], s[26:27]
	v_mul_f64 v[130:131], v[72:73], s[20:21]
	v_add_f64 v[122:123], v[48:49], -v[32:33]
	s_mov_b32 s33, exec_lo
	v_mul_f64 v[112:113], v[110:111], s[28:29]
	v_mul_f64 v[120:121], v[82:83], s[22:23]
	s_barrier
	buffer_gl0_inv
	v_fma_f64 v[0:1], v[74:75], s[4:5], -v[76:77]
	v_fma_f64 v[2:3], v[96:97], s[6:7], v[106:107]
	v_fma_f64 v[80:81], v[68:69], s[14:15], -v[88:89]
	v_fma_f64 v[86:87], v[98:99], s[18:19], v[116:117]
	;; [unrolled: 2-line block ×5, first 2 shown]
	v_add_f64 v[0:1], v[16:17], v[0:1]
	v_add_f64 v[2:3], v[18:19], v[2:3]
	;; [unrolled: 1-line block ×8, first 2 shown]
	v_mul_f64 v[100:101], v[104:105], s[30:31]
	v_mul_f64 v[108:109], v[80:81], s[24:25]
	v_add_f64 v[0:1], v[132:133], v[0:1]
	v_add_f64 v[2:3], v[134:135], v[2:3]
	v_fma_f64 v[132:133], v[86:87], s[24:25], -v[100:101]
	v_fma_f64 v[134:135], v[122:123], s[30:31], v[108:109]
	v_add_f64 v[0:1], v[136:137], v[0:1]
	v_add_f64 v[2:3], v[138:139], v[2:3]
	;; [unrolled: 1-line block ×4, first 2 shown]
	v_cmpx_gt_u32_e32 22, v56
	s_cbranch_execz .LBB0_13
; %bb.12:
	v_mul_f64 v[132:133], v[96:97], s[16:17]
	v_mul_f64 v[138:139], v[66:67], s[16:17]
	;; [unrolled: 1-line block ×4, first 2 shown]
	s_mov_b32 s1, 0xbfe5384d
	s_mov_b32 s0, s26
	v_add_f64 v[54:55], v[18:19], v[54:55]
	v_mul_f64 v[199:200], v[96:97], s[0:1]
	v_mul_f64 v[148:149], v[96:97], s[18:19]
	;; [unrolled: 1-line block ×5, first 2 shown]
	s_mov_b32 s35, 0x3fea55e2
	s_mov_b32 s34, s6
	v_mul_f64 v[156:157], v[98:99], s[28:29]
	v_add_f64 v[52:53], v[16:17], v[52:53]
	v_mul_f64 v[150:151], v[98:99], s[26:27]
	v_mul_f64 v[152:153], v[66:67], s[18:19]
	;; [unrolled: 1-line block ×6, first 2 shown]
	v_fma_f64 v[162:163], v[60:61], s[10:11], v[132:133]
	v_fma_f64 v[164:165], v[74:75], s[10:11], -v[138:139]
	v_fma_f64 v[211:212], v[62:63], s[24:25], v[136:137]
	v_fma_f64 v[213:214], v[68:69], s[24:25], -v[134:135]
	v_fma_f64 v[132:133], v[60:61], s[10:11], -v[132:133]
	;; [unrolled: 1-line block ×3, first 2 shown]
	v_add_f64 v[42:43], v[54:55], v[42:43]
	v_fma_f64 v[54:55], v[74:75], s[10:11], v[138:139]
	v_fma_f64 v[227:228], v[60:61], s[20:21], v[199:200]
	;; [unrolled: 1-line block ×4, first 2 shown]
	v_fma_f64 v[231:232], v[74:75], s[20:21], -v[203:204]
	v_fma_f64 v[239:240], v[84:85], s[20:21], -v[180:181]
	v_fma_f64 v[199:200], v[60:61], s[20:21], -v[199:200]
	v_fma_f64 v[203:204], v[74:75], s[20:21], v[203:204]
	v_fma_f64 v[134:135], v[68:69], s[24:25], v[134:135]
	;; [unrolled: 1-line block ×3, first 2 shown]
	v_mul_f64 v[140:141], v[124:125], s[18:19]
	v_mul_f64 v[142:143], v[110:111], s[18:19]
	;; [unrolled: 1-line block ×4, first 2 shown]
	v_add_f64 v[40:41], v[52:53], v[40:41]
	v_add_f64 v[162:163], v[18:19], v[162:163]
	;; [unrolled: 1-line block ×3, first 2 shown]
	v_fma_f64 v[225:226], v[74:75], s[14:15], -v[152:153]
	v_fma_f64 v[243:244], v[68:69], s[22:23], -v[158:159]
	v_add_f64 v[132:133], v[18:19], v[132:133]
	v_fma_f64 v[156:157], v[62:63], s[22:23], -v[156:157]
	v_fma_f64 v[158:159], v[68:69], s[22:23], v[158:159]
	v_add_f64 v[54:55], v[16:17], v[54:55]
	v_add_f64 v[227:228], v[18:19], v[227:228]
	v_add_f64 v[138:139], v[18:19], v[138:139]
	v_fma_f64 v[251:252], v[72:73], s[4:5], v[197:198]
	v_add_f64 v[231:232], v[16:17], v[231:232]
	v_fma_f64 v[253:254], v[94:95], s[4:5], -v[201:202]
	v_add_f64 v[199:200], v[18:19], v[199:200]
	v_add_f64 v[203:204], v[16:17], v[203:204]
	s_mov_b32 s37, 0x3fcea1e5
	s_mov_b32 s36, s16
	v_mul_f64 v[160:161], v[114:115], s[30:31]
	v_mul_f64 v[209:210], v[126:127], s[36:37]
	v_fma_f64 v[249:250], v[64:65], s[4:5], v[168:169]
	v_mul_f64 v[144:145], v[122:123], s[28:29]
	v_mul_f64 v[146:147], v[104:105], s[28:29]
	v_add_f64 v[162:163], v[211:212], v[162:163]
	v_add_f64 v[164:165], v[213:214], v[164:165]
	v_fma_f64 v[211:212], v[62:63], s[20:21], v[150:151]
	v_mul_f64 v[166:167], v[78:79], s[30:31]
	v_add_f64 v[132:133], v[136:137], v[132:133]
	v_fma_f64 v[136:137], v[84:85], s[20:21], v[180:181]
	v_mul_f64 v[215:216], v[92:93], s[36:37]
	v_add_f64 v[54:55], v[134:135], v[54:55]
	v_add_f64 v[180:181], v[241:242], v[227:228]
	v_fma_f64 v[52:53], v[82:83], s[14:15], v[140:141]
	v_fma_f64 v[229:230], v[90:91], s[14:15], -v[142:143]
	v_fma_f64 v[213:214], v[68:69], s[20:21], -v[154:155]
	v_add_f64 v[225:226], v[16:17], v[225:226]
	v_fma_f64 v[168:169], v[64:65], s[4:5], -v[168:169]
	v_fma_f64 v[178:179], v[64:65], s[20:21], -v[178:179]
	;; [unrolled: 1-line block ×3, first 2 shown]
	v_fma_f64 v[148:149], v[84:85], s[4:5], v[170:171]
	v_fma_f64 v[152:153], v[74:75], s[14:15], v[152:153]
	v_add_f64 v[30:31], v[42:43], v[30:31]
	v_add_f64 v[28:29], v[40:41], v[28:29]
	;; [unrolled: 1-line block ×6, first 2 shown]
	v_fma_f64 v[237:238], v[84:85], s[4:5], -v[170:171]
	v_add_f64 v[138:139], v[211:212], v[138:139]
	v_add_f64 v[211:212], v[243:244], v[231:232]
	v_mul_f64 v[172:173], v[124:125], s[28:29]
	s_mov_b32 s29, 0xbfefc445
	v_mul_f64 v[174:175], v[124:125], s[30:31]
	v_mul_f64 v[205:206], v[126:127], s[28:29]
	v_fma_f64 v[245:246], v[64:65], s[24:25], v[160:161]
	v_add_f64 v[54:55], v[136:137], v[54:55]
	v_fma_f64 v[136:137], v[72:73], s[10:11], v[209:210]
	v_add_f64 v[180:181], v[249:250], v[180:181]
	v_mul_f64 v[176:177], v[110:111], s[30:31]
	v_mul_f64 v[207:208], v[92:93], s[28:29]
	;; [unrolled: 1-line block ×4, first 2 shown]
	v_fma_f64 v[233:234], v[80:81], s[22:23], v[144:145]
	v_fma_f64 v[235:236], v[86:87], s[22:23], -v[146:147]
	v_fma_f64 v[247:248], v[84:85], s[24:25], -v[166:167]
	v_add_f64 v[170:171], v[213:214], v[225:226]
	v_fma_f64 v[150:151], v[62:63], s[20:21], -v[150:151]
	v_add_f64 v[40:41], v[251:252], v[162:163]
	v_add_f64 v[42:43], v[253:254], v[164:165]
	v_fma_f64 v[162:163], v[72:73], s[4:5], -v[197:198]
	v_fma_f64 v[164:165], v[94:95], s[4:5], v[201:202]
	v_add_f64 v[132:133], v[178:179], v[132:133]
	v_add_f64 v[134:135], v[18:19], v[134:135]
	v_fma_f64 v[199:200], v[94:95], s[10:11], -v[215:216]
	v_add_f64 v[201:202], v[237:238], v[211:212]
	v_fma_f64 v[154:155], v[68:69], s[20:21], v[154:155]
	v_add_f64 v[152:153], v[16:17], v[152:153]
	v_fma_f64 v[203:204], v[72:73], s[10:11], -v[209:210]
	v_add_f64 v[30:31], v[30:31], v[46:47]
	v_add_f64 v[28:29], v[28:29], v[44:45]
	;; [unrolled: 1-line block ×3, first 2 shown]
	v_fma_f64 v[46:47], v[94:95], s[10:11], v[215:216]
	v_mul_f64 v[217:218], v[124:125], s[36:37]
	v_fma_f64 v[197:198], v[72:73], s[22:23], v[205:206]
	v_add_f64 v[138:139], v[245:246], v[138:139]
	v_add_f64 v[136:137], v[136:137], v[180:181]
	v_mul_f64 v[219:220], v[110:111], s[36:37]
	v_fma_f64 v[178:179], v[94:95], s[22:23], -v[207:208]
	v_add_f64 v[170:171], v[247:248], v[170:171]
	v_add_f64 v[40:41], v[52:53], v[40:41]
	;; [unrolled: 1-line block ×4, first 2 shown]
	v_fma_f64 v[148:149], v[82:83], s[24:25], v[174:175]
	v_fma_f64 v[156:157], v[64:65], s[24:25], -v[160:161]
	v_add_f64 v[132:133], v[162:163], v[132:133]
	v_add_f64 v[54:55], v[164:165], v[54:55]
	;; [unrolled: 1-line block ×3, first 2 shown]
	v_fma_f64 v[162:163], v[90:91], s[24:25], -v[176:177]
	v_add_f64 v[164:165], v[199:200], v[201:202]
	v_add_f64 v[152:153], v[154:155], v[152:153]
	v_mul_f64 v[154:155], v[98:99], s[16:17]
	v_add_f64 v[38:39], v[30:31], v[38:39]
	v_add_f64 v[36:37], v[28:29], v[36:37]
	s_mov_b32 s37, 0x3fedeba7
	v_fma_f64 v[158:159], v[82:83], s[10:11], v[217:218]
	s_mov_b32 s36, s18
	v_add_f64 v[138:139], v[197:198], v[138:139]
	v_fma_f64 v[140:141], v[82:83], s[14:15], -v[140:141]
	v_fma_f64 v[142:143], v[90:91], s[14:15], v[142:143]
	v_fma_f64 v[150:151], v[90:91], s[10:11], -v[219:220]
	v_add_f64 v[160:161], v[178:179], v[170:171]
	v_add_f64 v[30:31], v[233:234], v[40:41]
	;; [unrolled: 1-line block ×4, first 2 shown]
	v_fma_f64 v[42:43], v[60:61], s[22:23], v[221:222]
	v_add_f64 v[44:45], v[46:47], v[52:53]
	v_mul_f64 v[46:47], v[70:71], s[16:17]
	v_fma_f64 v[52:53], v[74:75], s[22:23], -v[223:224]
	v_add_f64 v[136:137], v[148:149], v[136:137]
	v_mul_f64 v[148:149], v[96:97], s[6:7]
	v_fma_f64 v[166:167], v[84:85], s[24:25], v[166:167]
	v_add_f64 v[134:135], v[156:157], v[134:135]
	v_add_f64 v[156:157], v[162:163], v[164:165]
	;; [unrolled: 1-line block ×4, first 2 shown]
	v_fma_f64 v[48:49], v[62:63], s[10:11], v[154:155]
	v_mul_f64 v[50:51], v[114:115], s[36:37]
	v_mul_f64 v[170:171], v[122:123], s[30:31]
	v_add_f64 v[138:139], v[158:159], v[138:139]
	v_fma_f64 v[158:159], v[82:83], s[24:25], -v[174:175]
	v_mul_f64 v[174:175], v[92:93], s[30:31]
	v_add_f64 v[132:133], v[140:141], v[132:133]
	v_fma_f64 v[140:141], v[60:61], s[22:23], -v[221:222]
	v_add_f64 v[54:55], v[142:143], v[54:55]
	v_fma_f64 v[142:143], v[72:73], s[22:23], -v[205:206]
	v_add_f64 v[150:151], v[150:151], v[160:161]
	v_add_f64 v[42:43], v[18:19], v[42:43]
	v_fma_f64 v[160:161], v[94:95], s[22:23], v[207:208]
	v_fma_f64 v[162:163], v[68:69], s[10:11], -v[46:47]
	v_add_f64 v[52:53], v[16:17], v[52:53]
	v_mul_f64 v[168:169], v[98:99], s[18:19]
	v_add_f64 v[106:107], v[106:107], -v[148:149]
	v_mul_f64 v[148:149], v[126:127], s[30:31]
	s_mov_b32 s31, 0xbfddbe06
	v_add_f64 v[152:153], v[166:167], v[152:153]
	v_fma_f64 v[166:167], v[90:91], s[24:25], v[176:177]
	v_mul_f64 v[176:177], v[74:75], s[4:5]
	v_mul_f64 v[96:97], v[96:97], s[30:31]
	;; [unrolled: 1-line block ×3, first 2 shown]
	v_add_f64 v[34:35], v[38:39], v[34:35]
	v_add_f64 v[32:33], v[36:37], v[32:33]
	v_fma_f64 v[154:155], v[62:63], s[10:11], -v[154:155]
	v_mul_f64 v[164:165], v[78:79], s[36:37]
	v_add_f64 v[40:41], v[158:159], v[40:41]
	v_add_f64 v[140:141], v[18:19], v[140:141]
	v_mul_f64 v[158:159], v[68:69], s[14:15]
	v_add_f64 v[134:135], v[142:143], v[134:135]
	v_fma_f64 v[142:143], v[74:75], s[22:23], v[223:224]
	v_add_f64 v[36:37], v[48:49], v[42:43]
	v_fma_f64 v[38:39], v[82:83], s[10:11], -v[217:218]
	v_mul_f64 v[78:79], v[78:79], s[28:29]
	v_add_f64 v[48:49], v[162:163], v[52:53]
	v_fma_f64 v[52:53], v[64:65], s[14:15], v[50:51]
	v_add_f64 v[116:117], v[116:117], -v[168:169]
	v_add_f64 v[106:107], v[18:19], v[106:107]
	v_fma_f64 v[46:47], v[68:69], s[10:11], v[46:47]
	v_add_f64 v[152:153], v[160:161], v[152:153]
	v_mul_f64 v[160:161], v[114:115], s[16:17]
	v_add_f64 v[44:45], v[166:167], v[44:45]
	v_add_f64 v[76:77], v[176:177], v[76:77]
	v_fma_f64 v[162:163], v[60:61], s[24:25], v[96:97]
	v_fma_f64 v[166:167], v[74:75], s[24:25], -v[66:67]
	v_fma_f64 v[60:61], v[60:61], s[24:25], -v[96:97]
	v_fma_f64 v[66:67], v[74:75], s[24:25], v[66:67]
	v_mul_f64 v[74:75], v[98:99], s[6:7]
	v_add_f64 v[26:27], v[34:35], v[26:27]
	v_add_f64 v[24:25], v[32:33], v[24:25]
	;; [unrolled: 1-line block ×3, first 2 shown]
	v_fma_f64 v[154:155], v[84:85], s[14:15], -v[164:165]
	v_add_f64 v[142:143], v[16:17], v[142:143]
	v_add_f64 v[88:89], v[158:159], v[88:89]
	;; [unrolled: 1-line block ×3, first 2 shown]
	v_fma_f64 v[50:51], v[64:65], s[14:15], -v[50:51]
	v_fma_f64 v[134:135], v[80:81], s[22:23], -v[144:145]
	v_add_f64 v[34:35], v[52:53], v[36:37]
	v_mul_f64 v[36:37], v[70:71], s[6:7]
	v_mul_f64 v[70:71], v[84:85], s[10:11]
	v_add_f64 v[96:97], v[116:117], v[106:107]
	v_fma_f64 v[144:145], v[72:73], s[24:25], v[148:149]
	v_add_f64 v[52:53], v[128:129], -v[160:161]
	v_mul_f64 v[106:107], v[104:105], s[18:19]
	v_add_f64 v[76:77], v[16:17], v[76:77]
	v_add_f64 v[116:117], v[18:19], v[162:163]
	;; [unrolled: 1-line block ×5, first 2 shown]
	v_fma_f64 v[60:61], v[62:63], s[4:5], -v[74:75]
	v_mul_f64 v[66:67], v[114:115], s[28:29]
	v_add_f64 v[20:21], v[24:25], v[20:21]
	v_fma_f64 v[62:63], v[62:63], s[4:5], v[74:75]
	v_add_f64 v[38:39], v[154:155], v[48:49]
	v_mul_f64 v[48:49], v[126:127], s[26:27]
	v_mul_f64 v[126:127], v[126:127], s[18:19]
	;; [unrolled: 1-line block ×3, first 2 shown]
	v_add_f64 v[46:47], v[46:47], v[142:143]
	v_add_f64 v[22:23], v[26:27], v[22:23]
	;; [unrolled: 1-line block ×3, first 2 shown]
	v_fma_f64 v[24:25], v[68:69], s[4:5], v[36:37]
	v_fma_f64 v[36:37], v[68:69], s[4:5], -v[36:37]
	v_add_f64 v[70:71], v[70:71], v[102:103]
	v_fma_f64 v[140:141], v[86:87], s[22:23], v[146:147]
	v_add_f64 v[52:53], v[52:53], v[96:97]
	v_fma_f64 v[146:147], v[94:95], s[24:25], -v[174:175]
	v_add_f64 v[76:77], v[88:89], v[76:77]
	v_mul_f64 v[88:89], v[92:93], s[18:19]
	v_fma_f64 v[92:93], v[84:85], s[22:23], v[78:79]
	v_fma_f64 v[78:79], v[84:85], s[22:23], -v[78:79]
	v_mul_f64 v[74:75], v[86:87], s[24:25]
	v_add_f64 v[18:19], v[60:61], v[18:19]
	v_fma_f64 v[60:61], v[64:65], s[22:23], -v[66:67]
	v_fma_f64 v[64:65], v[64:65], s[22:23], v[66:67]
	v_add_f64 v[62:63], v[62:63], v[116:117]
	v_mul_f64 v[116:117], v[124:125], s[6:7]
	v_add_f64 v[48:49], v[130:131], -v[48:49]
	v_mul_f64 v[130:131], v[90:91], s[22:23]
	v_mul_f64 v[124:125], v[124:125], s[0:1]
	v_add_f64 v[114:115], v[114:115], v[118:119]
	v_fma_f64 v[66:67], v[72:73], s[24:25], -v[148:149]
	v_add_f64 v[14:15], v[22:23], v[14:15]
	v_add_f64 v[16:17], v[24:25], v[16:17]
	v_fma_f64 v[24:25], v[84:85], s[14:15], v[164:165]
	v_add_f64 v[36:37], v[36:37], v[128:129]
	v_mul_f64 v[128:129], v[110:111], s[6:7]
	v_mul_f64 v[110:111], v[110:111], s[0:1]
	v_add_f64 v[12:13], v[20:21], v[12:13]
	v_add_f64 v[70:71], v[70:71], v[76:77]
	v_fma_f64 v[76:77], v[94:95], s[14:15], v[88:89]
	v_mul_f64 v[96:97], v[104:105], s[34:35]
	v_mul_f64 v[26:27], v[122:123], s[34:35]
	;; [unrolled: 1-line block ×3, first 2 shown]
	v_fma_f64 v[42:43], v[90:91], s[10:11], v[219:220]
	v_add_f64 v[18:19], v[60:61], v[18:19]
	v_fma_f64 v[60:61], v[72:73], s[14:15], -v[126:127]
	v_fma_f64 v[72:73], v[72:73], s[14:15], v[126:127]
	v_add_f64 v[62:63], v[64:65], v[62:63]
	v_fma_f64 v[64:65], v[94:95], s[14:15], -v[88:89]
	v_add_f64 v[88:89], v[120:121], -v[172:173]
	v_add_f64 v[48:49], v[48:49], v[52:53]
	v_add_f64 v[52:53], v[130:131], v[112:113]
	v_fma_f64 v[112:113], v[82:83], s[20:21], -v[124:125]
	v_add_f64 v[50:51], v[66:67], v[50:51]
	v_add_f64 v[16:17], v[92:93], v[16:17]
	v_fma_f64 v[92:93], v[94:95], s[24:25], v[174:175]
	v_add_f64 v[24:25], v[24:25], v[46:47]
	v_add_f64 v[36:37], v[78:79], v[36:37]
	v_mul_f64 v[46:47], v[104:105], s[0:1]
	v_mul_f64 v[94:95], v[122:123], s[16:17]
	;; [unrolled: 1-line block ×3, first 2 shown]
	v_add_f64 v[20:21], v[114:115], v[70:71]
	v_fma_f64 v[66:67], v[82:83], s[4:5], -v[116:117]
	v_fma_f64 v[78:79], v[90:91], s[4:5], v[128:129]
	v_mul_f64 v[98:99], v[122:123], s[18:19]
	v_add_f64 v[34:35], v[144:145], v[34:35]
	v_fma_f64 v[70:71], v[90:91], s[4:5], -v[128:129]
	v_add_f64 v[18:19], v[60:61], v[18:19]
	v_fma_f64 v[60:61], v[90:91], s[20:21], v[110:111]
	v_add_f64 v[38:39], v[146:147], v[38:39]
	v_add_f64 v[62:63], v[72:73], v[62:63]
	v_fma_f64 v[72:73], v[90:91], s[20:21], -v[110:111]
	v_add_f64 v[74:75], v[74:75], v[100:101]
	v_add_f64 v[100:101], v[14:15], v[10:11]
	v_add_f64 v[48:49], v[88:89], v[48:49]
	v_fma_f64 v[142:143], v[80:81], s[4:5], v[26:27]
	v_add_f64 v[16:17], v[76:77], v[16:17]
	v_fma_f64 v[76:77], v[82:83], s[20:21], v[124:125]
	v_add_f64 v[22:23], v[92:93], v[24:25]
	;; [unrolled: 2-line block ×3, first 2 shown]
	v_add_f64 v[82:83], v[108:109], -v[170:171]
	v_add_f64 v[108:109], v[12:13], v[8:9]
	v_fma_f64 v[88:89], v[80:81], s[10:11], -v[94:95]
	v_fma_f64 v[92:93], v[86:87], s[10:11], v[104:105]
	v_fma_f64 v[26:27], v[80:81], s[4:5], -v[26:27]
	v_add_f64 v[20:21], v[52:53], v[20:21]
	v_fma_f64 v[64:65], v[80:81], s[20:21], -v[118:119]
	v_add_f64 v[50:51], v[66:67], v[50:51]
	v_add_f64 v[90:91], v[112:113], v[18:19]
	v_fma_f64 v[66:67], v[86:87], s[20:21], v[46:47]
	v_add_f64 v[42:43], v[42:43], v[152:153]
	v_fma_f64 v[84:85], v[86:87], s[4:5], -v[96:97]
	v_fma_f64 v[96:97], v[86:87], s[4:5], v[96:97]
	v_fma_f64 v[68:69], v[80:81], s[14:15], v[98:99]
	v_fma_f64 v[102:103], v[86:87], s[14:15], -v[106:107]
	v_fma_f64 v[98:99], v[80:81], s[14:15], -v[98:99]
	v_fma_f64 v[106:107], v[86:87], s[14:15], v[106:107]
	v_add_f64 v[16:17], v[60:61], v[16:17]
	v_fma_f64 v[60:61], v[80:81], s[20:21], v[118:119]
	v_add_f64 v[52:53], v[78:79], v[22:23]
	v_add_f64 v[78:79], v[24:25], v[34:35]
	v_fma_f64 v[110:111], v[86:87], s[20:21], -v[46:47]
	v_add_f64 v[70:71], v[70:71], v[38:39]
	v_fma_f64 v[80:81], v[80:81], s[10:11], v[94:95]
	v_add_f64 v[62:63], v[76:77], v[62:63]
	v_fma_f64 v[76:77], v[86:87], s[10:11], -v[104:105]
	v_add_f64 v[72:73], v[72:73], v[36:37]
	v_add_f64 v[6:7], v[100:101], v[6:7]
	;; [unrolled: 1-line block ×23, first 2 shown]
	v_mul_u32_u24_e32 v52, 0xc0, v56
	v_add3_u32 v52, v195, v52, v196
	ds_write_b128 v52, v[4:7]
	ds_write_b128 v52, v[36:39] offset:16
	ds_write_b128 v52, v[32:35] offset:32
	;; [unrolled: 1-line block ×12, first 2 shown]
.LBB0_13:
	s_or_b32 exec_lo, exec_lo, s33
	v_add_nc_u32_e32 v48, -13, v56
	v_cmp_gt_u32_e64 s0, 13, v56
	v_mov_b32_e32 v57, 0
	s_waitcnt lgkmcnt(0)
	s_barrier
	buffer_gl0_inv
	v_cndmask_b32_e64 v55, v48, v56, s0
	v_mov_b32_e32 v5, v57
	s_mov_b32 s4, 0xf8bb580b
	s_mov_b32 s6, 0x8764f0ba
	;; [unrolled: 1-line block ×3, first 2 shown]
	v_mul_i32_i24_e32 v4, 10, v55
	s_mov_b32 s18, 0xd9c712b6
	s_mov_b32 s20, 0x43842ef
	;; [unrolled: 1-line block ×4, first 2 shown]
	v_lshlrev_b64 v[4:5], 4, v[4:5]
	s_mov_b32 s28, 0x7f775887
	s_mov_b32 s34, 0xfd768dbf
	;; [unrolled: 1-line block ×5, first 2 shown]
	v_add_co_u32 v8, s1, s8, v4
	v_add_co_ci_u32_e64 v9, s1, s9, v5, s1
	s_mov_b32 s15, 0xbfed1bb4
	s_mov_b32 s19, 0x3fda9628
	s_clause 0x9
	global_load_dwordx4 v[4:7], v[8:9], off
	global_load_dwordx4 v[10:13], v[8:9], off offset:144
	global_load_dwordx4 v[14:17], v[8:9], off offset:16
	;; [unrolled: 1-line block ×9, first 2 shown]
	ds_read_b128 v[66:69], v193
	ds_read_b128 v[49:52], v194 offset:416
	ds_read_b128 v[60:63], v194 offset:832
	;; [unrolled: 1-line block ×10, first 2 shown]
	s_mov_b32 s21, 0xbfefac9e
	s_mov_b32 s25, 0xbfc2375f
	;; [unrolled: 1-line block ×16, first 2 shown]
	v_cmp_lt_u32_e64 s1, 12, v56
	s_waitcnt vmcnt(0) lgkmcnt(0)
	s_barrier
	buffer_gl0_inv
	v_mul_f64 v[8:9], v[51:52], v[6:7]
	v_mul_f64 v[6:7], v[49:50], v[6:7]
	;; [unrolled: 1-line block ×16, first 2 shown]
	v_fma_f64 v[49:50], v[49:50], v[4:5], v[8:9]
	v_fma_f64 v[51:52], v[51:52], v[4:5], -v[6:7]
	v_fma_f64 v[8:9], v[100:101], v[10:11], -v[46:47]
	v_mul_f64 v[46:47], v[80:81], v[40:41]
	v_mul_f64 v[40:41], v[78:79], v[40:41]
	v_fma_f64 v[53:54], v[60:61], v[14:15], v[53:54]
	v_fma_f64 v[10:11], v[98:99], v[10:11], v[12:13]
	v_fma_f64 v[16:17], v[62:63], v[14:15], -v[16:17]
	v_fma_f64 v[4:5], v[96:97], v[18:19], -v[64:65]
	v_fma_f64 v[6:7], v[94:95], v[18:19], v[20:21]
	v_fma_f64 v[18:19], v[70:71], v[22:23], v[102:103]
	v_fma_f64 v[20:21], v[72:73], v[22:23], -v[24:25]
	v_fma_f64 v[12:13], v[90:91], v[26:27], v[104:105]
	v_fma_f64 v[14:15], v[92:93], v[26:27], -v[28:29]
	v_fma_f64 v[90:91], v[76:77], v[30:31], -v[32:33]
	;; [unrolled: 1-line block ×3, first 2 shown]
	v_fma_f64 v[118:119], v[74:75], v[30:31], v[106:107]
	v_fma_f64 v[162:163], v[86:87], v[34:35], v[108:109]
	v_mul_f64 v[100:101], v[84:85], v[44:45]
	v_mul_f64 v[44:45], v[82:83], v[44:45]
	v_add_f64 v[22:23], v[66:67], v[49:50]
	v_add_f64 v[24:25], v[68:69], v[51:52]
	v_add_f64 v[26:27], v[51:52], -v[8:9]
	v_add_f64 v[28:29], v[51:52], v[8:9]
	v_fma_f64 v[120:121], v[78:79], v[38:39], v[46:47]
	v_fma_f64 v[122:123], v[80:81], v[38:39], -v[40:41]
	v_add_f64 v[30:31], v[49:50], v[10:11]
	v_add_f64 v[32:33], v[49:50], -v[10:11]
	v_add_f64 v[34:35], v[16:17], -v[4:5]
	v_add_f64 v[36:37], v[16:17], v[4:5]
	v_add_f64 v[38:39], v[53:54], v[6:7]
	v_add_f64 v[40:41], v[53:54], -v[6:7]
	v_add_f64 v[62:63], v[18:19], v[12:13]
	v_add_f64 v[64:65], v[18:19], -v[12:13]
	v_add_f64 v[46:47], v[90:91], -v[164:165]
	v_add_f64 v[78:79], v[118:119], v[162:163]
	v_fma_f64 v[138:139], v[82:83], v[42:43], v[100:101]
	v_fma_f64 v[140:141], v[84:85], v[42:43], -v[44:45]
	v_add_f64 v[42:43], v[20:21], v[14:15]
	v_add_f64 v[44:45], v[20:21], -v[14:15]
	v_add_f64 v[22:23], v[22:23], v[53:54]
	v_add_f64 v[16:17], v[24:25], v[16:17]
	v_mul_f64 v[24:25], v[26:27], s[4:5]
	v_mul_f64 v[49:50], v[28:29], s[6:7]
	;; [unrolled: 1-line block ×20, first 2 shown]
	v_add_f64 v[132:133], v[22:23], v[18:19]
	v_add_f64 v[134:135], v[16:17], v[20:21]
	v_fma_f64 v[136:137], v[30:31], s[6:7], v[24:25]
	v_fma_f64 v[142:143], v[32:33], s[10:11], v[49:50]
	v_fma_f64 v[144:145], v[30:31], s[6:7], -v[24:25]
	v_fma_f64 v[146:147], v[32:33], s[4:5], v[49:50]
	v_fma_f64 v[148:149], v[30:31], s[18:19], v[51:52]
	v_fma_f64 v[150:151], v[32:33], s[16:17], v[53:54]
	v_fma_f64 v[152:153], v[30:31], s[18:19], -v[51:52]
	v_fma_f64 v[154:155], v[32:33], s[14:15], v[53:54]
	;; [unrolled: 4-line block ×5, first 2 shown]
	v_fma_f64 v[178:179], v[38:39], s[18:19], v[76:77]
	v_fma_f64 v[197:198], v[38:39], s[18:19], -v[76:77]
	v_fma_f64 v[28:29], v[78:79], s[28:29], v[116:117]
	v_fma_f64 v[24:25], v[78:79], s[28:29], -v[116:117]
	v_fma_f64 v[22:23], v[78:79], s[24:25], v[124:125]
	v_fma_f64 v[20:21], v[78:79], s[24:25], -v[124:125]
	v_add_f64 v[237:238], v[66:67], v[136:137]
	v_add_f64 v[142:143], v[68:69], v[142:143]
	;; [unrolled: 1-line block ×20, first 2 shown]
	v_fma_f64 v[76:77], v[78:79], s[6:7], v[126:127]
	v_fma_f64 v[72:73], v[78:79], s[6:7], -v[126:127]
	v_fma_f64 v[74:75], v[78:79], s[36:37], v[128:129]
	v_fma_f64 v[68:69], v[78:79], s[36:37], -v[128:129]
	;; [unrolled: 2-line block ×3, first 2 shown]
	v_add_f64 v[78:79], v[90:91], v[164:165]
	v_mul_f64 v[86:87], v[34:35], s[38:39]
	v_mul_f64 v[88:89], v[36:37], s[36:37]
	;; [unrolled: 1-line block ×10, first 2 shown]
	v_fma_f64 v[180:181], v[40:41], s[16:17], v[80:81]
	v_fma_f64 v[199:200], v[40:41], s[14:15], v[80:81]
	;; [unrolled: 1-line block ×5, first 2 shown]
	v_fma_f64 v[221:222], v[38:39], s[24:25], -v[92:93]
	v_add_f64 v[92:93], v[118:119], -v[162:163]
	v_mul_f64 v[34:35], v[34:35], s[10:11]
	v_mul_f64 v[96:97], v[44:45], s[20:21]
	v_mul_f64 v[100:101], v[44:45], s[38:39]
	v_mul_f64 v[104:105], v[44:45], s[16:17]
	v_mul_f64 v[80:81], v[78:79], s[28:29]
	v_mul_f64 v[84:85], v[78:79], s[6:7]
	v_mul_f64 v[112:113], v[44:45], s[26:27]
	v_fma_f64 v[201:202], v[38:39], s[28:29], v[82:83]
	v_fma_f64 v[205:206], v[38:39], s[28:29], -v[82:83]
	v_fma_f64 v[209:210], v[38:39], s[36:37], v[86:87]
	v_fma_f64 v[213:214], v[38:39], s[36:37], -v[86:87]
	v_fma_f64 v[227:228], v[40:41], s[4:5], v[36:37]
	v_fma_f64 v[231:232], v[40:41], s[10:11], v[36:37]
	;; [unrolled: 1-line block ×10, first 2 shown]
	v_fma_f64 v[51:52], v[62:63], s[6:7], -v[108:109]
	v_fma_f64 v[26:27], v[64:65], s[4:5], v[110:111]
	v_fma_f64 v[60:61], v[64:65], s[30:31], v[114:115]
	v_fma_f64 v[64:65], v[64:65], s[26:27], v[114:115]
	v_mul_f64 v[82:83], v[78:79], s[24:25]
	v_mul_f64 v[86:87], v[78:79], s[36:37]
	v_fma_f64 v[116:117], v[92:93], s[30:31], v[80:81]
	v_fma_f64 v[114:115], v[92:93], s[26:27], v[80:81]
	;; [unrolled: 1-line block ×4, first 2 shown]
	v_add_f64 v[124:125], v[134:135], v[90:91]
	v_add_f64 v[84:85], v[122:123], -v[140:141]
	v_add_f64 v[118:119], v[132:133], v[118:119]
	v_fma_f64 v[211:212], v[40:41], s[34:35], v[88:89]
	v_fma_f64 v[215:216], v[40:41], s[38:39], v[88:89]
	;; [unrolled: 1-line block ×5, first 2 shown]
	v_fma_f64 v[229:230], v[38:39], s[6:7], -v[34:35]
	v_fma_f64 v[233:234], v[62:63], s[24:25], v[96:97]
	v_fma_f64 v[30:31], v[62:63], s[24:25], -v[96:97]
	v_fma_f64 v[34:35], v[62:63], s[36:37], v[100:101]
	;; [unrolled: 2-line block ×4, first 2 shown]
	v_fma_f64 v[62:63], v[62:63], s[28:29], -v[112:113]
	v_mul_f64 v[88:89], v[78:79], s[18:19]
	v_fma_f64 v[112:113], v[92:93], s[20:21], v[82:83]
	v_fma_f64 v[78:79], v[92:93], s[22:23], v[82:83]
	;; [unrolled: 1-line block ×4, first 2 shown]
	v_add_f64 v[128:129], v[120:121], v[138:139]
	v_mul_f64 v[86:87], v[84:85], s[34:35]
	v_mul_f64 v[126:127], v[84:85], s[16:17]
	v_add_f64 v[146:147], v[124:125], v[122:123]
	v_add_f64 v[122:123], v[122:123], v[140:141]
	;; [unrolled: 1-line block ×3, first 2 shown]
	v_mul_f64 v[90:91], v[84:85], s[26:27]
	v_add_f64 v[124:125], v[120:121], -v[138:139]
	v_add_f64 v[237:238], v[178:179], v[237:238]
	v_add_f64 v[188:189], v[180:181], v[142:143]
	;; [unrolled: 1-line block ×9, first 2 shown]
	v_fma_f64 v[100:101], v[92:93], s[14:15], v[88:89]
	v_fma_f64 v[94:95], v[92:93], s[16:17], v[88:89]
	v_mul_f64 v[88:89], v[84:85], s[10:11]
	v_mul_f64 v[84:85], v[84:85], s[20:21]
	v_add_f64 v[160:161], v[213:214], v[160:161]
	v_add_f64 v[170:171], v[221:222], v[251:252]
	v_fma_f64 v[110:111], v[128:129], s[36:37], v[86:87]
	v_fma_f64 v[106:107], v[128:129], s[36:37], -v[86:87]
	v_fma_f64 v[92:93], v[128:129], s[18:19], v[126:127]
	v_fma_f64 v[86:87], v[128:129], s[18:19], -v[126:127]
	v_mul_f64 v[118:119], v[122:123], s[36:37]
	v_mul_f64 v[120:121], v[122:123], s[6:7]
	v_mul_f64 v[126:127], v[122:123], s[28:29]
	v_mul_f64 v[150:151], v[122:123], s[18:19]
	v_mul_f64 v[152:153], v[122:123], s[24:25]
	v_add_f64 v[190:191], v[148:149], v[138:139]
	v_add_f64 v[58:59], v[146:147], v[140:141]
	v_fma_f64 v[98:99], v[128:129], s[28:29], v[90:91]
	v_fma_f64 v[90:91], v[128:129], s[28:29], -v[90:91]
	v_add_f64 v[146:147], v[197:198], v[144:145]
	v_add_f64 v[148:149], v[199:200], v[239:240]
	;; [unrolled: 1-line block ×5, first 2 shown]
	v_fma_f64 v[102:103], v[128:129], s[6:7], v[88:89]
	v_fma_f64 v[96:97], v[128:129], s[6:7], -v[88:89]
	v_fma_f64 v[88:89], v[128:129], s[24:25], v[84:85]
	v_fma_f64 v[84:85], v[128:129], s[24:25], -v[84:85]
	v_add_f64 v[140:141], v[215:216], v[249:250]
	v_add_f64 v[138:139], v[207:208], v[247:248]
	;; [unrolled: 1-line block ×4, first 2 shown]
	v_fma_f64 v[136:137], v[124:125], s[38:39], v[118:119]
	v_fma_f64 v[134:135], v[124:125], s[34:35], v[118:119]
	;; [unrolled: 1-line block ×10, first 2 shown]
	v_add_f64 v[150:151], v[201:202], v[241:242]
	v_add_f64 v[152:153], v[203:204], v[243:244]
	;; [unrolled: 1-line block ×28, first 2 shown]
	v_cndmask_b32_e64 v182, 0, 0x8f0, s1
	v_add_f64 v[20:21], v[20:21], v[38:39]
	v_add_f64 v[38:39], v[72:73], v[44:45]
	;; [unrolled: 1-line block ×40, first 2 shown]
	v_add_nc_u32_e32 v8, 0, v182
	v_lshlrev_b32_e32 v9, 4, v55
	v_add3_u32 v8, v8, v9, v196
	ds_write_b128 v8, v[12:15] offset:208
	ds_write_b128 v8, v[16:19] offset:416
	ds_write_b128 v8, v[24:27] offset:624
	ds_write_b128 v8, v[32:35] offset:832
	ds_write_b128 v8, v[40:43] offset:1040
	ds_write_b128 v8, v[44:47] offset:1248
	ds_write_b128 v8, v[36:39] offset:1456
	ds_write_b128 v8, v[28:31] offset:1664
	ds_write_b128 v8, v[20:23] offset:1872
	ds_write_b128 v8, v[4:7] offset:2080
	ds_write_b128 v8, v[49:52]
	s_waitcnt lgkmcnt(0)
	s_barrier
	buffer_gl0_inv
	ds_read_b128 v[12:15], v193
	ds_read_b128 v[16:19], v194 offset:416
	ds_read_b128 v[28:31], v194 offset:2704
	ds_read_b128 v[32:35], v194 offset:3120
	ds_read_b128 v[24:27], v194 offset:832
	ds_read_b128 v[20:23], v194 offset:1248
	ds_read_b128 v[44:47], v194 offset:2288
	ds_read_b128 v[8:11], v194 offset:1664
	ds_read_b128 v[40:43], v194 offset:3536
	ds_read_b128 v[36:39], v194 offset:3952
	s_and_saveexec_b32 s1, s0
	s_cbranch_execz .LBB0_15
; %bb.14:
	ds_read_b128 v[4:7], v194 offset:2080
	ds_read_b128 v[0:3], v194 offset:4368
	buffer_load_dword v48, off, s[40:43], 0 ; 4-byte Folded Reload
.LBB0_15:
	s_or_b32 exec_lo, exec_lo, s1
	v_lshlrev_b64 v[49:50], 4, v[56:57]
	v_add_co_u32 v49, s1, s8, v49
	v_add_co_ci_u32_e64 v50, s1, s9, v50, s1
	v_add_co_u32 v53, s1, 0x800, v49
	v_add_co_ci_u32_e64 v54, s1, 0, v50, s1
	s_clause 0x4
	global_load_dwordx4 v[49:52], v[53:54], off offset:32
	global_load_dwordx4 v[60:63], v[53:54], off offset:448
	;; [unrolled: 1-line block ×5, first 2 shown]
	s_waitcnt vmcnt(0) lgkmcnt(0)
	s_barrier
	buffer_gl0_inv
	v_mul_f64 v[53:54], v[46:47], v[51:52]
	v_mul_f64 v[51:52], v[44:45], v[51:52]
	;; [unrolled: 1-line block ×10, first 2 shown]
	v_fma_f64 v[44:45], v[44:45], v[49:50], v[53:54]
	v_fma_f64 v[46:47], v[46:47], v[49:50], -v[51:52]
	v_fma_f64 v[49:50], v[28:29], v[60:61], v[57:58]
	v_fma_f64 v[51:52], v[30:31], v[60:61], -v[62:63]
	;; [unrolled: 2-line block ×5, first 2 shown]
	v_add_f64 v[28:29], v[12:13], -v[44:45]
	v_add_f64 v[30:31], v[14:15], -v[46:47]
	;; [unrolled: 1-line block ×10, first 2 shown]
	v_lshl_add_u32 v49, v192, 4, v195
	v_fma_f64 v[12:13], v[12:13], 2.0, -v[28:29]
	v_fma_f64 v[14:15], v[14:15], 2.0, -v[30:31]
	;; [unrolled: 1-line block ×10, first 2 shown]
	ds_write_b128 v194, v[28:31] offset:2288
	ds_write_b128 v49, v[32:35] offset:2704
	ds_write_b128 v49, v[36:39] offset:3120
	ds_write_b128 v49, v[40:43] offset:3536
	ds_write_b128 v194, v[12:15]
	ds_write_b128 v194, v[16:19] offset:416
	ds_write_b128 v194, v[24:27] offset:832
	;; [unrolled: 1-line block ×5, first 2 shown]
	s_and_saveexec_b32 s1, s0
	s_cbranch_execz .LBB0_17
; %bb.16:
	v_mov_b32_e32 v49, 0
	v_lshlrev_b64 v[8:9], 4, v[48:49]
	v_add_co_u32 v8, s0, s8, v8
	v_add_co_ci_u32_e64 v9, s0, s9, v9, s0
	v_add_co_u32 v8, s0, 0x800, v8
	v_add_co_ci_u32_e64 v9, s0, 0, v9, s0
	global_load_dwordx4 v[8:11], v[8:9], off offset:32
	s_waitcnt vmcnt(0)
	v_mul_f64 v[12:13], v[0:1], v[10:11]
	v_mul_f64 v[10:11], v[2:3], v[10:11]
	v_fma_f64 v[2:3], v[2:3], v[8:9], -v[12:13]
	v_fma_f64 v[0:1], v[0:1], v[8:9], v[10:11]
	v_add_f64 v[2:3], v[6:7], -v[2:3]
	v_add_f64 v[0:1], v[4:5], -v[0:1]
	v_fma_f64 v[6:7], v[6:7], 2.0, -v[2:3]
	v_fma_f64 v[4:5], v[4:5], 2.0, -v[0:1]
	ds_write_b128 v194, v[4:7] offset:2080
	ds_write_b128 v194, v[0:3] offset:4368
.LBB0_17:
	s_or_b32 exec_lo, exec_lo, s1
	s_waitcnt lgkmcnt(0)
	s_barrier
	buffer_gl0_inv
	s_and_saveexec_b32 s0, vcc_lo
	s_cbranch_execz .LBB0_19
; %bb.18:
	buffer_load_dword v4, off, s[40:43], 0 offset:40 ; 4-byte Folded Reload
	v_mad_u64_u32 v[8:9], null, s2, v56, 0
	v_mad_u64_u32 v[12:13], null, s2, v255, 0
	v_mov_b32_e32 v0, v9
	s_waitcnt vmcnt(0)
	v_mad_u64_u32 v[10:11], null, s2, v4, 0
	v_mov_b32_e32 v1, v11
	v_mad_u64_u32 v[2:3], null, s3, v56, v[0:1]
	v_mad_u64_u32 v[14:15], null, s3, v4, v[1:2]
	s_clause 0x1
	buffer_load_dword v0, off, s[40:43], 0 offset:4
	buffer_load_dword v1, off, s[40:43], 0 offset:8
	v_mov_b32_e32 v9, v2
	v_lshlrev_b64 v[8:9], 4, v[8:9]
	v_mov_b32_e32 v11, v14
	v_lshlrev_b64 v[10:11], 4, v[10:11]
	s_waitcnt vmcnt(1)
	v_add_co_u32 v31, vcc_lo, s12, v0
	s_waitcnt vmcnt(0)
	v_add_co_ci_u32_e32 v32, vcc_lo, s13, v1, vcc_lo
	ds_read_b128 v[0:3], v193
	ds_read_b128 v[4:7], v193 offset:416
	s_clause 0x1
	buffer_load_dword v19, off, s[40:43], 0 offset:36
	buffer_load_dword v21, off, s[40:43], 0 offset:32
	v_add_co_u32 v8, vcc_lo, v31, v8
	v_add_co_ci_u32_e32 v9, vcc_lo, v32, v9, vcc_lo
	v_add_co_u32 v10, vcc_lo, v31, v10
	v_add_co_ci_u32_e32 v11, vcc_lo, v32, v11, vcc_lo
	s_waitcnt lgkmcnt(1)
	global_store_dwordx4 v[8:9], v[0:3], off
	s_waitcnt lgkmcnt(0)
	global_store_dwordx4 v[10:11], v[4:7], off
	s_waitcnt vmcnt(1)
	v_mad_u64_u32 v[14:15], null, s2, v19, 0
	v_mad_u64_u32 v[16:17], null, s3, v255, v[13:14]
	s_waitcnt vmcnt(0)
	v_mad_u64_u32 v[17:18], null, s2, v21, 0
	v_mov_b32_e32 v13, v16
	v_mad_u64_u32 v[15:16], null, s3, v19, v[15:16]
	v_mov_b32_e32 v2, v18
	v_lshlrev_b64 v[0:1], 4, v[12:13]
	buffer_load_dword v12, off, s[40:43], 0 ; 4-byte Folded Reload
	v_mad_u64_u32 v[8:9], null, s3, v21, v[2:3]
	v_lshlrev_b64 v[10:11], 4, v[14:15]
	v_add_co_u32 v21, vcc_lo, v31, v0
	v_add_co_ci_u32_e32 v22, vcc_lo, v32, v1, vcc_lo
	ds_read_b128 v[0:3], v193 offset:832
	ds_read_b128 v[4:7], v193 offset:1248
	buffer_load_dword v28, off, s[40:43], 0 offset:28 ; 4-byte Folded Reload
	v_add_co_u32 v26, vcc_lo, v31, v10
	v_mov_b32_e32 v18, v8
	v_add_co_ci_u32_e32 v27, vcc_lo, v32, v11, vcc_lo
	v_lshlrev_b64 v[16:17], 4, v[17:18]
	v_add_co_u32 v16, vcc_lo, v31, v16
	v_add_co_ci_u32_e32 v17, vcc_lo, v32, v17, vcc_lo
	s_waitcnt vmcnt(1)
	v_mad_u64_u32 v[19:20], null, s2, v12, 0
	v_mov_b32_e32 v9, v20
	v_mad_u64_u32 v[23:24], null, s3, v12, v[9:10]
	ds_read_b128 v[8:11], v193 offset:1664
	ds_read_b128 v[12:15], v193 offset:2080
	s_waitcnt vmcnt(0)
	v_mad_u64_u32 v[24:25], null, s2, v28, 0
	s_waitcnt lgkmcnt(3)
	global_store_dwordx4 v[21:22], v[0:3], off
	v_mov_b32_e32 v20, v23
	buffer_load_dword v23, off, s[40:43], 0 offset:24 ; 4-byte Folded Reload
	v_mov_b32_e32 v18, v25
	v_lshlrev_b64 v[19:20], 4, v[19:20]
	v_mad_u64_u32 v[28:29], null, s3, v28, v[18:19]
	v_add_co_u32 v18, vcc_lo, v31, v19
	v_add_co_ci_u32_e32 v19, vcc_lo, v32, v20, vcc_lo
	s_waitcnt lgkmcnt(2)
	global_store_dwordx4 v[26:27], v[4:7], off
	s_waitcnt lgkmcnt(1)
	global_store_dwordx4 v[16:17], v[8:11], off
	;; [unrolled: 2-line block ×3, first 2 shown]
	s_clause 0x2
	buffer_load_dword v5, off, s[40:43], 0 offset:20
	buffer_load_dword v14, off, s[40:43], 0 offset:16
	;; [unrolled: 1-line block ×3, first 2 shown]
	v_mov_b32_e32 v25, v28
	v_lshlrev_b64 v[1:2], 4, v[24:25]
	v_add_co_u32 v22, vcc_lo, v31, v1
	s_waitcnt vmcnt(3)
	v_mad_u64_u32 v[29:30], null, s2, v23, 0
	v_mov_b32_e32 v0, v30
	v_mad_u64_u32 v[3:4], null, s3, v23, v[0:1]
	v_add_co_ci_u32_e32 v23, vcc_lo, v32, v2, vcc_lo
	s_waitcnt vmcnt(2)
	v_mad_u64_u32 v[8:9], null, s2, v5, 0
	s_waitcnt vmcnt(1)
	v_mad_u64_u32 v[20:21], null, s2, v14, 0
	v_mov_b32_e32 v30, v3
	s_waitcnt vmcnt(0)
	v_mad_u64_u32 v[24:25], null, s2, v16, 0
	v_mov_b32_e32 v0, v9
	v_lshlrev_b64 v[11:12], 4, v[29:30]
	v_mad_u64_u32 v[9:10], null, s3, v5, v[0:1]
	v_mov_b32_e32 v10, v21
	v_mov_b32_e32 v13, v25
	ds_read_b128 v[0:3], v193 offset:2496
	ds_read_b128 v[4:7], v193 offset:2912
	v_mad_u64_u32 v[14:15], null, s3, v14, v[10:11]
	v_lshlrev_b64 v[28:29], 4, v[8:9]
	v_mad_u64_u32 v[25:26], null, s3, v16, v[13:14]
	v_add_co_u32 v26, vcc_lo, v31, v11
	v_add_co_ci_u32_e32 v27, vcc_lo, v32, v12, vcc_lo
	v_mov_b32_e32 v21, v14
	ds_read_b128 v[8:11], v193 offset:3328
	ds_read_b128 v[12:15], v193 offset:3744
	;; [unrolled: 1-line block ×3, first 2 shown]
	v_add_co_u32 v28, vcc_lo, v31, v28
	v_lshlrev_b64 v[24:25], 4, v[24:25]
	v_lshlrev_b64 v[20:21], 4, v[20:21]
	v_add_co_ci_u32_e32 v29, vcc_lo, v32, v29, vcc_lo
	v_add_co_u32 v20, vcc_lo, v31, v20
	v_add_co_ci_u32_e32 v21, vcc_lo, v32, v21, vcc_lo
	v_add_co_u32 v24, vcc_lo, v31, v24
	v_add_co_ci_u32_e32 v25, vcc_lo, v32, v25, vcc_lo
	s_waitcnt lgkmcnt(4)
	global_store_dwordx4 v[22:23], v[0:3], off
	s_waitcnt lgkmcnt(3)
	global_store_dwordx4 v[26:27], v[4:7], off
	;; [unrolled: 2-line block ×5, first 2 shown]
.LBB0_19:
	s_endpgm
	.section	.rodata,"a",@progbits
	.p2align	6, 0x0
	.amdhsa_kernel fft_rtc_back_len286_factors_13_11_2_wgs_52_tpt_26_dp_ip_CI_sbrr_dirReg
		.amdhsa_group_segment_fixed_size 0
		.amdhsa_private_segment_fixed_size 48
		.amdhsa_kernarg_size 88
		.amdhsa_user_sgpr_count 6
		.amdhsa_user_sgpr_private_segment_buffer 1
		.amdhsa_user_sgpr_dispatch_ptr 0
		.amdhsa_user_sgpr_queue_ptr 0
		.amdhsa_user_sgpr_kernarg_segment_ptr 1
		.amdhsa_user_sgpr_dispatch_id 0
		.amdhsa_user_sgpr_flat_scratch_init 0
		.amdhsa_user_sgpr_private_segment_size 0
		.amdhsa_wavefront_size32 1
		.amdhsa_uses_dynamic_stack 0
		.amdhsa_system_sgpr_private_segment_wavefront_offset 1
		.amdhsa_system_sgpr_workgroup_id_x 1
		.amdhsa_system_sgpr_workgroup_id_y 0
		.amdhsa_system_sgpr_workgroup_id_z 0
		.amdhsa_system_sgpr_workgroup_info 0
		.amdhsa_system_vgpr_workitem_id 0
		.amdhsa_next_free_vgpr 256
		.amdhsa_next_free_sgpr 44
		.amdhsa_reserve_vcc 1
		.amdhsa_reserve_flat_scratch 0
		.amdhsa_float_round_mode_32 0
		.amdhsa_float_round_mode_16_64 0
		.amdhsa_float_denorm_mode_32 3
		.amdhsa_float_denorm_mode_16_64 3
		.amdhsa_dx10_clamp 1
		.amdhsa_ieee_mode 1
		.amdhsa_fp16_overflow 0
		.amdhsa_workgroup_processor_mode 1
		.amdhsa_memory_ordered 1
		.amdhsa_forward_progress 0
		.amdhsa_shared_vgpr_count 0
		.amdhsa_exception_fp_ieee_invalid_op 0
		.amdhsa_exception_fp_denorm_src 0
		.amdhsa_exception_fp_ieee_div_zero 0
		.amdhsa_exception_fp_ieee_overflow 0
		.amdhsa_exception_fp_ieee_underflow 0
		.amdhsa_exception_fp_ieee_inexact 0
		.amdhsa_exception_int_div_zero 0
	.end_amdhsa_kernel
	.text
.Lfunc_end0:
	.size	fft_rtc_back_len286_factors_13_11_2_wgs_52_tpt_26_dp_ip_CI_sbrr_dirReg, .Lfunc_end0-fft_rtc_back_len286_factors_13_11_2_wgs_52_tpt_26_dp_ip_CI_sbrr_dirReg
                                        ; -- End function
	.section	.AMDGPU.csdata,"",@progbits
; Kernel info:
; codeLenInByte = 11068
; NumSgprs: 46
; NumVgprs: 256
; ScratchSize: 48
; MemoryBound: 0
; FloatMode: 240
; IeeeMode: 1
; LDSByteSize: 0 bytes/workgroup (compile time only)
; SGPRBlocks: 5
; VGPRBlocks: 31
; NumSGPRsForWavesPerEU: 46
; NumVGPRsForWavesPerEU: 256
; Occupancy: 4
; WaveLimiterHint : 1
; COMPUTE_PGM_RSRC2:SCRATCH_EN: 1
; COMPUTE_PGM_RSRC2:USER_SGPR: 6
; COMPUTE_PGM_RSRC2:TRAP_HANDLER: 0
; COMPUTE_PGM_RSRC2:TGID_X_EN: 1
; COMPUTE_PGM_RSRC2:TGID_Y_EN: 0
; COMPUTE_PGM_RSRC2:TGID_Z_EN: 0
; COMPUTE_PGM_RSRC2:TIDIG_COMP_CNT: 0
	.text
	.p2alignl 6, 3214868480
	.fill 48, 4, 3214868480
	.type	__hip_cuid_53c98e56cd02da05,@object ; @__hip_cuid_53c98e56cd02da05
	.section	.bss,"aw",@nobits
	.globl	__hip_cuid_53c98e56cd02da05
__hip_cuid_53c98e56cd02da05:
	.byte	0                               ; 0x0
	.size	__hip_cuid_53c98e56cd02da05, 1

	.ident	"AMD clang version 19.0.0git (https://github.com/RadeonOpenCompute/llvm-project roc-6.4.0 25133 c7fe45cf4b819c5991fe208aaa96edf142730f1d)"
	.section	".note.GNU-stack","",@progbits
	.addrsig
	.addrsig_sym __hip_cuid_53c98e56cd02da05
	.amdgpu_metadata
---
amdhsa.kernels:
  - .args:
      - .actual_access:  read_only
        .address_space:  global
        .offset:         0
        .size:           8
        .value_kind:     global_buffer
      - .offset:         8
        .size:           8
        .value_kind:     by_value
      - .actual_access:  read_only
        .address_space:  global
        .offset:         16
        .size:           8
        .value_kind:     global_buffer
      - .actual_access:  read_only
        .address_space:  global
        .offset:         24
        .size:           8
        .value_kind:     global_buffer
      - .offset:         32
        .size:           8
        .value_kind:     by_value
      - .actual_access:  read_only
        .address_space:  global
        .offset:         40
        .size:           8
        .value_kind:     global_buffer
      - .actual_access:  read_only
        .address_space:  global
        .offset:         48
        .size:           8
        .value_kind:     global_buffer
      - .offset:         56
        .size:           4
        .value_kind:     by_value
      - .actual_access:  read_only
        .address_space:  global
        .offset:         64
        .size:           8
        .value_kind:     global_buffer
      - .actual_access:  read_only
        .address_space:  global
        .offset:         72
        .size:           8
        .value_kind:     global_buffer
      - .address_space:  global
        .offset:         80
        .size:           8
        .value_kind:     global_buffer
    .group_segment_fixed_size: 0
    .kernarg_segment_align: 8
    .kernarg_segment_size: 88
    .language:       OpenCL C
    .language_version:
      - 2
      - 0
    .max_flat_workgroup_size: 52
    .name:           fft_rtc_back_len286_factors_13_11_2_wgs_52_tpt_26_dp_ip_CI_sbrr_dirReg
    .private_segment_fixed_size: 48
    .sgpr_count:     46
    .sgpr_spill_count: 0
    .symbol:         fft_rtc_back_len286_factors_13_11_2_wgs_52_tpt_26_dp_ip_CI_sbrr_dirReg.kd
    .uniform_work_group_size: 1
    .uses_dynamic_stack: false
    .vgpr_count:     256
    .vgpr_spill_count: 11
    .wavefront_size: 32
    .workgroup_processor_mode: 1
amdhsa.target:   amdgcn-amd-amdhsa--gfx1030
amdhsa.version:
  - 1
  - 2
...

	.end_amdgpu_metadata
